;; amdgpu-corpus repo=zjin-lcf/HeCBench kind=compiled arch=gfx906 opt=O3
	.amdgcn_target "amdgcn-amd-amdhsa--gfx906"
	.amdhsa_code_object_version 6
	.text
	.protected	_Z14generate_tablePiii  ; -- Begin function _Z14generate_tablePiii
	.globl	_Z14generate_tablePiii
	.p2align	8
	.type	_Z14generate_tablePiii,@function
_Z14generate_tablePiii:                 ; @_Z14generate_tablePiii
; %bb.0:
	s_load_dword s7, s[4:5], 0x1c
	s_load_dwordx2 s[2:3], s[4:5], 0x8
	s_add_u32 s0, s4, 16
	s_addc_u32 s1, s5, 0
	s_waitcnt lgkmcnt(0)
	s_and_b32 s7, s7, 0xffff
	s_mul_i32 s6, s6, s7
	v_add_u32_e32 v0, s6, v0
	v_cmp_gt_i32_e32 vcc, s2, v0
	s_and_saveexec_b64 s[8:9], vcc
	s_cbranch_execz .LBB0_3
; %bb.1:
	s_load_dword s6, s[0:1], 0x0
	s_load_dwordx2 s[8:9], s[4:5], 0x0
	v_ashrrev_i32_e32 v1, 31, v0
	v_lshlrev_b64 v[1:2], 2, v[0:1]
	s_waitcnt lgkmcnt(0)
	s_mul_i32 s4, s6, s7
	s_ashr_i32 s5, s4, 31
	v_mov_b32_e32 v3, s9
	v_add_co_u32_e32 v1, vcc, s8, v1
	s_lshl_b64 s[6:7], s[4:5], 2
	v_addc_co_u32_e32 v2, vcc, v3, v2, vcc
	s_mov_b64 s[8:9], 0
	v_mov_b32_e32 v3, s7
.LBB0_2:                                ; =>This Inner Loop Header: Depth=1
	v_cmp_gt_i32_e32 vcc, s3, v0
	v_cndmask_b32_e32 v4, -1, v0, vcc
	v_add_u32_e32 v0, s4, v0
	global_store_dword v[1:2], v4, off
	v_add_co_u32_e32 v1, vcc, s6, v1
	v_cmp_le_i32_e64 s[0:1], s2, v0
	s_or_b64 s[8:9], s[0:1], s[8:9]
	v_addc_co_u32_e32 v2, vcc, v2, v3, vcc
	s_andn2_b64 exec, exec, s[8:9]
	s_cbranch_execnz .LBB0_2
.LBB0_3:
	s_endpgm
	.section	.rodata,"a",@progbits
	.p2align	6, 0x0
	.amdhsa_kernel _Z14generate_tablePiii
		.amdhsa_group_segment_fixed_size 0
		.amdhsa_private_segment_fixed_size 0
		.amdhsa_kernarg_size 272
		.amdhsa_user_sgpr_count 6
		.amdhsa_user_sgpr_private_segment_buffer 1
		.amdhsa_user_sgpr_dispatch_ptr 0
		.amdhsa_user_sgpr_queue_ptr 0
		.amdhsa_user_sgpr_kernarg_segment_ptr 1
		.amdhsa_user_sgpr_dispatch_id 0
		.amdhsa_user_sgpr_flat_scratch_init 0
		.amdhsa_user_sgpr_private_segment_size 0
		.amdhsa_uses_dynamic_stack 0
		.amdhsa_system_sgpr_private_segment_wavefront_offset 0
		.amdhsa_system_sgpr_workgroup_id_x 1
		.amdhsa_system_sgpr_workgroup_id_y 0
		.amdhsa_system_sgpr_workgroup_id_z 0
		.amdhsa_system_sgpr_workgroup_info 0
		.amdhsa_system_vgpr_workitem_id 0
		.amdhsa_next_free_vgpr 5
		.amdhsa_next_free_sgpr 10
		.amdhsa_reserve_vcc 1
		.amdhsa_reserve_flat_scratch 0
		.amdhsa_float_round_mode_32 0
		.amdhsa_float_round_mode_16_64 0
		.amdhsa_float_denorm_mode_32 3
		.amdhsa_float_denorm_mode_16_64 3
		.amdhsa_dx10_clamp 1
		.amdhsa_ieee_mode 1
		.amdhsa_fp16_overflow 0
		.amdhsa_exception_fp_ieee_invalid_op 0
		.amdhsa_exception_fp_denorm_src 0
		.amdhsa_exception_fp_ieee_div_zero 0
		.amdhsa_exception_fp_ieee_overflow 0
		.amdhsa_exception_fp_ieee_underflow 0
		.amdhsa_exception_fp_ieee_inexact 0
		.amdhsa_exception_int_div_zero 0
	.end_amdhsa_kernel
	.text
.Lfunc_end0:
	.size	_Z14generate_tablePiii, .Lfunc_end0-_Z14generate_tablePiii
                                        ; -- End function
	.set _Z14generate_tablePiii.num_vgpr, 5
	.set _Z14generate_tablePiii.num_agpr, 0
	.set _Z14generate_tablePiii.numbered_sgpr, 10
	.set _Z14generate_tablePiii.num_named_barrier, 0
	.set _Z14generate_tablePiii.private_seg_size, 0
	.set _Z14generate_tablePiii.uses_vcc, 1
	.set _Z14generate_tablePiii.uses_flat_scratch, 0
	.set _Z14generate_tablePiii.has_dyn_sized_stack, 0
	.set _Z14generate_tablePiii.has_recursion, 0
	.set _Z14generate_tablePiii.has_indirect_call, 0
	.section	.AMDGPU.csdata,"",@progbits
; Kernel info:
; codeLenInByte = 172
; TotalNumSgprs: 14
; NumVgprs: 5
; ScratchSize: 0
; MemoryBound: 0
; FloatMode: 240
; IeeeMode: 1
; LDSByteSize: 0 bytes/workgroup (compile time only)
; SGPRBlocks: 1
; VGPRBlocks: 1
; NumSGPRsForWavesPerEU: 14
; NumVGPRsForWavesPerEU: 5
; Occupancy: 10
; WaveLimiterHint : 0
; COMPUTE_PGM_RSRC2:SCRATCH_EN: 0
; COMPUTE_PGM_RSRC2:USER_SGPR: 6
; COMPUTE_PGM_RSRC2:TRAP_HANDLER: 0
; COMPUTE_PGM_RSRC2:TGID_X_EN: 1
; COMPUTE_PGM_RSRC2:TGID_Y_EN: 0
; COMPUTE_PGM_RSRC2:TGID_Z_EN: 0
; COMPUTE_PGM_RSRC2:TIDIG_COMP_CNT: 0
	.text
	.protected	_Z17bitonic_sort_stepPiiiiPKci ; -- Begin function _Z17bitonic_sort_stepPiiiiPKci
	.globl	_Z17bitonic_sort_stepPiiiiPKci
	.p2align	8
	.type	_Z17bitonic_sort_stepPiiiiPKci,@function
_Z17bitonic_sort_stepPiiiiPKci:         ; @_Z17bitonic_sort_stepPiiiiPKci
; %bb.0:
	s_load_dword s7, s[4:5], 0x34
	s_load_dwordx4 s[0:3], s[4:5], 0x8
	s_waitcnt lgkmcnt(0)
	s_and_b32 s3, s7, 0xffff
	s_mul_i32 s6, s6, s3
	v_add_u32_e32 v4, s6, v0
	v_xor_b32_e32 v2, s1, v4
	v_min_u32_e32 v0, s0, v2
	v_cmp_gt_u32_e32 vcc, v0, v4
	s_and_saveexec_b64 s[0:1], vcc
	s_cbranch_execz .LBB1_15
; %bb.1:
	s_load_dwordx2 s[0:1], s[4:5], 0x0
	v_mov_b32_e32 v5, 0
	v_lshlrev_b64 v[0:1], 2, v[4:5]
	v_and_b32_e32 v4, s2, v4
	s_waitcnt lgkmcnt(0)
	v_mov_b32_e32 v3, s1
	v_add_co_u32_e32 v0, vcc, s0, v0
	v_addc_co_u32_e32 v1, vcc, v3, v1, vcc
	v_mov_b32_e32 v3, v5
	v_lshlrev_b64 v[2:3], 2, v[2:3]
	v_mov_b32_e32 v5, s1
	v_add_co_u32_e32 v2, vcc, s0, v2
	v_addc_co_u32_e32 v3, vcc, v5, v3, vcc
	global_load_dword v10, v[0:1], off
	global_load_dword v11, v[2:3], off
	v_cmp_eq_u32_e32 vcc, 0, v4
	s_waitcnt vmcnt(0)
	v_cndmask_b32_e32 v4, v10, v11, vcc
	v_cmp_lt_i32_e64 s[0:1], -1, v4
	s_and_b64 exec, exec, s[0:1]
	s_cbranch_execz .LBB1_15
; %bb.2:
	v_cndmask_b32_e32 v5, v11, v10, vcc
	v_cmp_lt_i32_e32 vcc, -1, v5
	s_mov_b64 s[2:3], -1
	s_and_saveexec_b64 s[0:1], vcc
	s_cbranch_execz .LBB1_13
; %bb.3:
	s_load_dword s14, s[4:5], 0x20
	s_waitcnt lgkmcnt(0)
	s_cmp_lt_i32 s14, 1
	s_cbranch_scc1 .LBB1_11
; %bb.4:
	v_cvt_f32_u32_e32 v6, s14
	s_sub_i32 s2, 0, s14
	s_mov_b64 s[6:7], 0
	s_mov_b32 s15, s14
	v_rcp_iflag_f32_e32 v6, v6
                                        ; implicit-def: $sgpr10_sgpr11
                                        ; implicit-def: $sgpr8_sgpr9
	v_mul_f32_e32 v6, 0x4f7ffffe, v6
	v_cvt_u32_f32_e32 v6, v6
	v_mul_lo_u32 v7, s2, v6
	s_load_dwordx2 s[2:3], s[4:5], 0x18
	v_mul_hi_u32 v7, v6, v7
	v_add_u32_e32 v12, v6, v7
	v_mad_u64_u32 v[6:7], s[4:5], v5, v12, 0
	v_mad_u64_u32 v[8:9], s[4:5], v4, v12, 0
                                        ; implicit-def: $sgpr4_sgpr5
	s_branch .LBB1_6
.LBB1_5:                                ;   in Loop: Header=BB1_6 Depth=1
	s_or_b64 exec, exec, s[12:13]
	s_and_b64 s[12:13], exec, s[10:11]
	s_or_b64 s[6:7], s[12:13], s[6:7]
	s_andn2_b64 s[4:5], s[4:5], exec
	s_and_b64 s[12:13], s[8:9], exec
	s_or_b64 s[4:5], s[4:5], s[12:13]
	s_andn2_b64 exec, exec, s[6:7]
	s_cbranch_execz .LBB1_8
.LBB1_6:                                ; =>This Inner Loop Header: Depth=1
	v_mul_lo_u32 v13, s14, v7
	v_mul_lo_u32 v16, s14, v9
	v_not_b32_e32 v14, v9
	v_not_b32_e32 v15, v7
	v_sub_u32_e32 v17, v5, v13
	v_mad_u64_u32 v[13:14], s[12:13], s14, v14, v[4:5]
	v_mad_u64_u32 v[14:15], s[12:13], s14, v15, v[5:6]
	v_sub_u32_e32 v15, v4, v16
	v_cmp_le_u32_e32 vcc, s14, v15
	v_cndmask_b32_e32 v13, v15, v13, vcc
	v_subrev_u32_e32 v15, s14, v13
	v_cmp_le_u32_e32 vcc, s14, v13
	v_cndmask_b32_e32 v15, v13, v15, vcc
	v_cmp_le_u32_e32 vcc, s14, v17
	v_cndmask_b32_e32 v13, v17, v14, vcc
	v_subrev_u32_e32 v14, s14, v13
	v_cmp_le_u32_e32 vcc, s14, v13
	v_cndmask_b32_e32 v16, v13, v14, vcc
	s_waitcnt lgkmcnt(0)
	global_load_ubyte v13, v15, s[2:3]
	global_load_ubyte v14, v16, s[2:3]
	s_or_b64 s[8:9], s[8:9], exec
	s_or_b64 s[10:11], s[10:11], exec
	s_waitcnt vmcnt(0)
	v_cmp_eq_u16_e32 vcc, v13, v14
	s_and_saveexec_b64 s[12:13], vcc
	s_cbranch_execz .LBB1_5
; %bb.7:                                ;   in Loop: Header=BB1_6 Depth=1
	s_add_i32 s15, s15, -1
	v_add_co_u32_e32 v6, vcc, v6, v12
	s_cmp_eq_u32 s15, 0
	v_addc_co_u32_e32 v7, vcc, 0, v7, vcc
	s_cselect_b64 s[16:17], -1, 0
	v_add_co_u32_e32 v8, vcc, v8, v12
	s_andn2_b64 s[10:11], s[10:11], exec
	s_and_b64 s[16:17], s[16:17], exec
	v_add_u32_e32 v5, 1, v5
	v_add_u32_e32 v4, 1, v4
	v_addc_co_u32_e32 v9, vcc, 0, v9, vcc
	s_andn2_b64 s[8:9], s[8:9], exec
	s_or_b64 s[10:11], s[10:11], s[16:17]
	s_branch .LBB1_5
.LBB1_8:
	s_or_b64 exec, exec, s[6:7]
	s_mov_b64 s[2:3], 0
                                        ; implicit-def: $sgpr6_sgpr7
	s_and_saveexec_b64 s[8:9], s[4:5]
	s_xor_b64 s[4:5], exec, s[8:9]
; %bb.9:
	s_mov_b64 s[2:3], exec
	v_cmp_lt_i16_sdwa s[6:7], sext(v13), sext(v14) src0_sel:BYTE_0 src1_sel:BYTE_0
; %bb.10:
	s_or_b64 exec, exec, s[4:5]
	s_branch .LBB1_12
.LBB1_11:
	s_mov_b64 s[2:3], 0
                                        ; implicit-def: $sgpr6_sgpr7
.LBB1_12:
	s_and_b64 s[2:3], s[2:3], s[6:7]
	s_orn2_b64 s[2:3], s[2:3], exec
.LBB1_13:
	s_or_b64 exec, exec, s[0:1]
	s_and_b64 exec, exec, s[2:3]
	s_cbranch_execz .LBB1_15
; %bb.14:
	global_store_dword v[0:1], v11, off
	global_store_dword v[2:3], v10, off
.LBB1_15:
	s_endpgm
	.section	.rodata,"a",@progbits
	.p2align	6, 0x0
	.amdhsa_kernel _Z17bitonic_sort_stepPiiiiPKci
		.amdhsa_group_segment_fixed_size 0
		.amdhsa_private_segment_fixed_size 0
		.amdhsa_kernarg_size 296
		.amdhsa_user_sgpr_count 6
		.amdhsa_user_sgpr_private_segment_buffer 1
		.amdhsa_user_sgpr_dispatch_ptr 0
		.amdhsa_user_sgpr_queue_ptr 0
		.amdhsa_user_sgpr_kernarg_segment_ptr 1
		.amdhsa_user_sgpr_dispatch_id 0
		.amdhsa_user_sgpr_flat_scratch_init 0
		.amdhsa_user_sgpr_private_segment_size 0
		.amdhsa_uses_dynamic_stack 0
		.amdhsa_system_sgpr_private_segment_wavefront_offset 0
		.amdhsa_system_sgpr_workgroup_id_x 1
		.amdhsa_system_sgpr_workgroup_id_y 0
		.amdhsa_system_sgpr_workgroup_id_z 0
		.amdhsa_system_sgpr_workgroup_info 0
		.amdhsa_system_vgpr_workitem_id 0
		.amdhsa_next_free_vgpr 18
		.amdhsa_next_free_sgpr 18
		.amdhsa_reserve_vcc 1
		.amdhsa_reserve_flat_scratch 0
		.amdhsa_float_round_mode_32 0
		.amdhsa_float_round_mode_16_64 0
		.amdhsa_float_denorm_mode_32 3
		.amdhsa_float_denorm_mode_16_64 3
		.amdhsa_dx10_clamp 1
		.amdhsa_ieee_mode 1
		.amdhsa_fp16_overflow 0
		.amdhsa_exception_fp_ieee_invalid_op 0
		.amdhsa_exception_fp_denorm_src 0
		.amdhsa_exception_fp_ieee_div_zero 0
		.amdhsa_exception_fp_ieee_overflow 0
		.amdhsa_exception_fp_ieee_underflow 0
		.amdhsa_exception_fp_ieee_inexact 0
		.amdhsa_exception_int_div_zero 0
	.end_amdhsa_kernel
	.text
.Lfunc_end1:
	.size	_Z17bitonic_sort_stepPiiiiPKci, .Lfunc_end1-_Z17bitonic_sort_stepPiiiiPKci
                                        ; -- End function
	.set _Z17bitonic_sort_stepPiiiiPKci.num_vgpr, 18
	.set _Z17bitonic_sort_stepPiiiiPKci.num_agpr, 0
	.set _Z17bitonic_sort_stepPiiiiPKci.numbered_sgpr, 18
	.set _Z17bitonic_sort_stepPiiiiPKci.num_named_barrier, 0
	.set _Z17bitonic_sort_stepPiiiiPKci.private_seg_size, 0
	.set _Z17bitonic_sort_stepPiiiiPKci.uses_vcc, 1
	.set _Z17bitonic_sort_stepPiiiiPKci.uses_flat_scratch, 0
	.set _Z17bitonic_sort_stepPiiiiPKci.has_dyn_sized_stack, 0
	.set _Z17bitonic_sort_stepPiiiiPKci.has_recursion, 0
	.set _Z17bitonic_sort_stepPiiiiPKci.has_indirect_call, 0
	.section	.AMDGPU.csdata,"",@progbits
; Kernel info:
; codeLenInByte = 584
; TotalNumSgprs: 22
; NumVgprs: 18
; ScratchSize: 0
; MemoryBound: 0
; FloatMode: 240
; IeeeMode: 1
; LDSByteSize: 0 bytes/workgroup (compile time only)
; SGPRBlocks: 2
; VGPRBlocks: 4
; NumSGPRsForWavesPerEU: 22
; NumVGPRsForWavesPerEU: 18
; Occupancy: 10
; WaveLimiterHint : 0
; COMPUTE_PGM_RSRC2:SCRATCH_EN: 0
; COMPUTE_PGM_RSRC2:USER_SGPR: 6
; COMPUTE_PGM_RSRC2:TRAP_HANDLER: 0
; COMPUTE_PGM_RSRC2:TGID_X_EN: 1
; COMPUTE_PGM_RSRC2:TGID_Y_EN: 0
; COMPUTE_PGM_RSRC2:TGID_Z_EN: 0
; COMPUTE_PGM_RSRC2:TIDIG_COMP_CNT: 0
	.text
	.protected	_Z20reconstruct_sequencePKiPKcPci ; -- Begin function _Z20reconstruct_sequencePKiPKcPci
	.globl	_Z20reconstruct_sequencePKiPKcPci
	.p2align	8
	.type	_Z20reconstruct_sequencePKiPKcPci,@function
_Z20reconstruct_sequencePKiPKcPci:      ; @_Z20reconstruct_sequencePKiPKcPci
; %bb.0:
	s_load_dword s0, s[4:5], 0x2c
	s_load_dword s10, s[4:5], 0x18
	s_add_u32 s8, s4, 32
	s_addc_u32 s9, s5, 0
	s_waitcnt lgkmcnt(0)
	s_and_b32 s7, s0, 0xffff
	s_mul_i32 s6, s6, s7
	v_add_u32_e32 v0, s6, v0
	v_cmp_gt_i32_e32 vcc, s10, v0
	s_and_saveexec_b64 s[0:1], vcc
	s_cbranch_execz .LBB2_3
; %bb.1:
	s_abs_i32 s11, s10
	v_cvt_f32_u32_e32 v1, s11
	s_load_dwordx4 s[0:3], s[4:5], 0x0
	s_load_dwordx2 s[12:13], s[4:5], 0x10
	s_load_dword s6, s[8:9], 0x0
	s_sub_i32 s4, 0, s11
	s_add_i32 s8, s10, -1
	v_rcp_iflag_f32_e32 v1, v1
	s_waitcnt lgkmcnt(0)
	v_mov_b32_e32 v6, s1
	v_mul_f32_e32 v1, 0x4f7ffffe, v1
	v_cvt_u32_f32_e32 v4, v1
	v_ashrrev_i32_e32 v1, 31, v0
	v_lshlrev_b64 v[2:3], 2, v[0:1]
	v_add_co_u32_e32 v2, vcc, s0, v2
	v_mul_lo_u32 v5, s4, v4
	s_mul_i32 s4, s6, s7
	v_addc_co_u32_e32 v3, vcc, v6, v3, vcc
	v_mul_hi_u32 v5, v4, v5
	s_ashr_i32 s5, s4, 31
	s_lshl_b64 s[0:1], s[4:5], 2
	s_mov_b64 s[6:7], 0
	v_add_u32_e32 v6, v4, v5
	v_mov_b32_e32 v5, s13
	v_add_co_u32_e32 v4, vcc, s12, v0
	v_addc_co_u32_e32 v5, vcc, v5, v1, vcc
	v_mov_b32_e32 v1, s3
	v_mov_b32_e32 v7, s1
	;; [unrolled: 1-line block ×3, first 2 shown]
.LBB2_2:                                ; =>This Inner Loop Header: Depth=1
	global_load_dword v9, v[2:3], off
	v_add_u32_e32 v0, s4, v0
	s_waitcnt vmcnt(0)
	v_add_u32_e32 v9, s8, v9
	v_sub_u32_e32 v11, 0, v9
	v_ashrrev_i32_e32 v10, 31, v9
	v_max_i32_e32 v9, v9, v11
	v_mul_hi_u32 v11, v9, v6
	v_mul_lo_u32 v11, v11, s11
	v_sub_u32_e32 v9, v9, v11
	v_subrev_u32_e32 v11, s11, v9
	v_cmp_le_u32_e32 vcc, s11, v9
	v_cndmask_b32_e32 v9, v9, v11, vcc
	v_subrev_u32_e32 v11, s11, v9
	v_cmp_le_u32_e32 vcc, s11, v9
	v_cndmask_b32_e32 v9, v9, v11, vcc
	v_xor_b32_e32 v9, v9, v10
	v_sub_u32_e32 v9, v9, v10
	v_ashrrev_i32_e32 v10, 31, v9
	v_add_co_u32_e32 v9, vcc, s2, v9
	v_addc_co_u32_e32 v10, vcc, v1, v10, vcc
	global_load_ubyte v9, v[9:10], off
	v_add_co_u32_e32 v2, vcc, s0, v2
	v_addc_co_u32_e32 v3, vcc, v3, v7, vcc
	v_cmp_le_i32_e32 vcc, s10, v0
	s_or_b64 s[6:7], vcc, s[6:7]
	s_waitcnt vmcnt(0)
	global_store_byte v[4:5], v9, off
	v_add_co_u32_e32 v4, vcc, s4, v4
	v_addc_co_u32_e32 v5, vcc, v5, v8, vcc
	s_andn2_b64 exec, exec, s[6:7]
	s_cbranch_execnz .LBB2_2
.LBB2_3:
	s_endpgm
	.section	.rodata,"a",@progbits
	.p2align	6, 0x0
	.amdhsa_kernel _Z20reconstruct_sequencePKiPKcPci
		.amdhsa_group_segment_fixed_size 0
		.amdhsa_private_segment_fixed_size 0
		.amdhsa_kernarg_size 288
		.amdhsa_user_sgpr_count 6
		.amdhsa_user_sgpr_private_segment_buffer 1
		.amdhsa_user_sgpr_dispatch_ptr 0
		.amdhsa_user_sgpr_queue_ptr 0
		.amdhsa_user_sgpr_kernarg_segment_ptr 1
		.amdhsa_user_sgpr_dispatch_id 0
		.amdhsa_user_sgpr_flat_scratch_init 0
		.amdhsa_user_sgpr_private_segment_size 0
		.amdhsa_uses_dynamic_stack 0
		.amdhsa_system_sgpr_private_segment_wavefront_offset 0
		.amdhsa_system_sgpr_workgroup_id_x 1
		.amdhsa_system_sgpr_workgroup_id_y 0
		.amdhsa_system_sgpr_workgroup_id_z 0
		.amdhsa_system_sgpr_workgroup_info 0
		.amdhsa_system_vgpr_workitem_id 0
		.amdhsa_next_free_vgpr 12
		.amdhsa_next_free_sgpr 14
		.amdhsa_reserve_vcc 1
		.amdhsa_reserve_flat_scratch 0
		.amdhsa_float_round_mode_32 0
		.amdhsa_float_round_mode_16_64 0
		.amdhsa_float_denorm_mode_32 3
		.amdhsa_float_denorm_mode_16_64 3
		.amdhsa_dx10_clamp 1
		.amdhsa_ieee_mode 1
		.amdhsa_fp16_overflow 0
		.amdhsa_exception_fp_ieee_invalid_op 0
		.amdhsa_exception_fp_denorm_src 0
		.amdhsa_exception_fp_ieee_div_zero 0
		.amdhsa_exception_fp_ieee_overflow 0
		.amdhsa_exception_fp_ieee_underflow 0
		.amdhsa_exception_fp_ieee_inexact 0
		.amdhsa_exception_int_div_zero 0
	.end_amdhsa_kernel
	.text
.Lfunc_end2:
	.size	_Z20reconstruct_sequencePKiPKcPci, .Lfunc_end2-_Z20reconstruct_sequencePKiPKcPci
                                        ; -- End function
	.set _Z20reconstruct_sequencePKiPKcPci.num_vgpr, 12
	.set _Z20reconstruct_sequencePKiPKcPci.num_agpr, 0
	.set _Z20reconstruct_sequencePKiPKcPci.numbered_sgpr, 14
	.set _Z20reconstruct_sequencePKiPKcPci.num_named_barrier, 0
	.set _Z20reconstruct_sequencePKiPKcPci.private_seg_size, 0
	.set _Z20reconstruct_sequencePKiPKcPci.uses_vcc, 1
	.set _Z20reconstruct_sequencePKiPKcPci.uses_flat_scratch, 0
	.set _Z20reconstruct_sequencePKiPKcPci.has_dyn_sized_stack, 0
	.set _Z20reconstruct_sequencePKiPKcPci.has_recursion, 0
	.set _Z20reconstruct_sequencePKiPKcPci.has_indirect_call, 0
	.section	.AMDGPU.csdata,"",@progbits
; Kernel info:
; codeLenInByte = 352
; TotalNumSgprs: 18
; NumVgprs: 12
; ScratchSize: 0
; MemoryBound: 0
; FloatMode: 240
; IeeeMode: 1
; LDSByteSize: 0 bytes/workgroup (compile time only)
; SGPRBlocks: 2
; VGPRBlocks: 2
; NumSGPRsForWavesPerEU: 18
; NumVGPRsForWavesPerEU: 12
; Occupancy: 10
; WaveLimiterHint : 1
; COMPUTE_PGM_RSRC2:SCRATCH_EN: 0
; COMPUTE_PGM_RSRC2:USER_SGPR: 6
; COMPUTE_PGM_RSRC2:TRAP_HANDLER: 0
; COMPUTE_PGM_RSRC2:TGID_X_EN: 1
; COMPUTE_PGM_RSRC2:TGID_Y_EN: 0
; COMPUTE_PGM_RSRC2:TGID_Z_EN: 0
; COMPUTE_PGM_RSRC2:TIDIG_COMP_CNT: 0
	.section	.AMDGPU.gpr_maximums,"",@progbits
	.set amdgpu.max_num_vgpr, 0
	.set amdgpu.max_num_agpr, 0
	.set amdgpu.max_num_sgpr, 0
	.section	.AMDGPU.csdata,"",@progbits
	.type	__hip_cuid_1d70ea50a6bb1146,@object ; @__hip_cuid_1d70ea50a6bb1146
	.section	.bss,"aw",@nobits
	.globl	__hip_cuid_1d70ea50a6bb1146
__hip_cuid_1d70ea50a6bb1146:
	.byte	0                               ; 0x0
	.size	__hip_cuid_1d70ea50a6bb1146, 1

	.ident	"AMD clang version 22.0.0git (https://github.com/RadeonOpenCompute/llvm-project roc-7.2.4 26084 f58b06dce1f9c15707c5f808fd002e18c2accf7e)"
	.section	".note.GNU-stack","",@progbits
	.addrsig
	.addrsig_sym __hip_cuid_1d70ea50a6bb1146
	.amdgpu_metadata
---
amdhsa.kernels:
  - .args:
      - .address_space:  global
        .offset:         0
        .size:           8
        .value_kind:     global_buffer
      - .offset:         8
        .size:           4
        .value_kind:     by_value
      - .offset:         12
        .size:           4
        .value_kind:     by_value
      - .offset:         16
        .size:           4
        .value_kind:     hidden_block_count_x
      - .offset:         20
        .size:           4
        .value_kind:     hidden_block_count_y
      - .offset:         24
        .size:           4
        .value_kind:     hidden_block_count_z
      - .offset:         28
        .size:           2
        .value_kind:     hidden_group_size_x
      - .offset:         30
        .size:           2
        .value_kind:     hidden_group_size_y
      - .offset:         32
        .size:           2
        .value_kind:     hidden_group_size_z
      - .offset:         34
        .size:           2
        .value_kind:     hidden_remainder_x
      - .offset:         36
        .size:           2
        .value_kind:     hidden_remainder_y
      - .offset:         38
        .size:           2
        .value_kind:     hidden_remainder_z
      - .offset:         56
        .size:           8
        .value_kind:     hidden_global_offset_x
      - .offset:         64
        .size:           8
        .value_kind:     hidden_global_offset_y
      - .offset:         72
        .size:           8
        .value_kind:     hidden_global_offset_z
      - .offset:         80
        .size:           2
        .value_kind:     hidden_grid_dims
    .group_segment_fixed_size: 0
    .kernarg_segment_align: 8
    .kernarg_segment_size: 272
    .language:       OpenCL C
    .language_version:
      - 2
      - 0
    .max_flat_workgroup_size: 1024
    .name:           _Z14generate_tablePiii
    .private_segment_fixed_size: 0
    .sgpr_count:     14
    .sgpr_spill_count: 0
    .symbol:         _Z14generate_tablePiii.kd
    .uniform_work_group_size: 1
    .uses_dynamic_stack: false
    .vgpr_count:     5
    .vgpr_spill_count: 0
    .wavefront_size: 64
  - .args:
      - .address_space:  global
        .offset:         0
        .size:           8
        .value_kind:     global_buffer
      - .offset:         8
        .size:           4
        .value_kind:     by_value
      - .offset:         12
        .size:           4
        .value_kind:     by_value
      - .offset:         16
        .size:           4
        .value_kind:     by_value
      - .actual_access:  read_only
        .address_space:  global
        .offset:         24
        .size:           8
        .value_kind:     global_buffer
      - .offset:         32
        .size:           4
        .value_kind:     by_value
      - .offset:         40
        .size:           4
        .value_kind:     hidden_block_count_x
      - .offset:         44
        .size:           4
        .value_kind:     hidden_block_count_y
      - .offset:         48
        .size:           4
        .value_kind:     hidden_block_count_z
      - .offset:         52
        .size:           2
        .value_kind:     hidden_group_size_x
      - .offset:         54
        .size:           2
        .value_kind:     hidden_group_size_y
      - .offset:         56
        .size:           2
        .value_kind:     hidden_group_size_z
      - .offset:         58
        .size:           2
        .value_kind:     hidden_remainder_x
      - .offset:         60
        .size:           2
        .value_kind:     hidden_remainder_y
      - .offset:         62
        .size:           2
        .value_kind:     hidden_remainder_z
      - .offset:         80
        .size:           8
        .value_kind:     hidden_global_offset_x
      - .offset:         88
        .size:           8
        .value_kind:     hidden_global_offset_y
      - .offset:         96
        .size:           8
        .value_kind:     hidden_global_offset_z
      - .offset:         104
        .size:           2
        .value_kind:     hidden_grid_dims
    .group_segment_fixed_size: 0
    .kernarg_segment_align: 8
    .kernarg_segment_size: 296
    .language:       OpenCL C
    .language_version:
      - 2
      - 0
    .max_flat_workgroup_size: 1024
    .name:           _Z17bitonic_sort_stepPiiiiPKci
    .private_segment_fixed_size: 0
    .sgpr_count:     22
    .sgpr_spill_count: 0
    .symbol:         _Z17bitonic_sort_stepPiiiiPKci.kd
    .uniform_work_group_size: 1
    .uses_dynamic_stack: false
    .vgpr_count:     18
    .vgpr_spill_count: 0
    .wavefront_size: 64
  - .args:
      - .actual_access:  read_only
        .address_space:  global
        .offset:         0
        .size:           8
        .value_kind:     global_buffer
      - .actual_access:  read_only
        .address_space:  global
        .offset:         8
        .size:           8
        .value_kind:     global_buffer
      - .actual_access:  write_only
        .address_space:  global
        .offset:         16
        .size:           8
        .value_kind:     global_buffer
      - .offset:         24
        .size:           4
        .value_kind:     by_value
      - .offset:         32
        .size:           4
        .value_kind:     hidden_block_count_x
      - .offset:         36
        .size:           4
        .value_kind:     hidden_block_count_y
      - .offset:         40
        .size:           4
        .value_kind:     hidden_block_count_z
      - .offset:         44
        .size:           2
        .value_kind:     hidden_group_size_x
      - .offset:         46
        .size:           2
        .value_kind:     hidden_group_size_y
      - .offset:         48
        .size:           2
        .value_kind:     hidden_group_size_z
      - .offset:         50
        .size:           2
        .value_kind:     hidden_remainder_x
      - .offset:         52
        .size:           2
        .value_kind:     hidden_remainder_y
      - .offset:         54
        .size:           2
        .value_kind:     hidden_remainder_z
      - .offset:         72
        .size:           8
        .value_kind:     hidden_global_offset_x
      - .offset:         80
        .size:           8
        .value_kind:     hidden_global_offset_y
      - .offset:         88
        .size:           8
        .value_kind:     hidden_global_offset_z
      - .offset:         96
        .size:           2
        .value_kind:     hidden_grid_dims
    .group_segment_fixed_size: 0
    .kernarg_segment_align: 8
    .kernarg_segment_size: 288
    .language:       OpenCL C
    .language_version:
      - 2
      - 0
    .max_flat_workgroup_size: 1024
    .name:           _Z20reconstruct_sequencePKiPKcPci
    .private_segment_fixed_size: 0
    .sgpr_count:     18
    .sgpr_spill_count: 0
    .symbol:         _Z20reconstruct_sequencePKiPKcPci.kd
    .uniform_work_group_size: 1
    .uses_dynamic_stack: false
    .vgpr_count:     12
    .vgpr_spill_count: 0
    .wavefront_size: 64
amdhsa.target:   amdgcn-amd-amdhsa--gfx906
amdhsa.version:
  - 1
  - 2
...

	.end_amdgpu_metadata
